;; amdgpu-corpus repo=ROCm/rocFFT kind=compiled arch=gfx1030 opt=O3
	.text
	.amdgcn_target "amdgcn-amd-amdhsa--gfx1030"
	.amdhsa_code_object_version 6
	.protected	fft_rtc_back_len100_factors_10_5_2_wgs_250_tpt_10_dim3_sp_ip_CI_sbcc_twdbase8_2step_dirReg ; -- Begin function fft_rtc_back_len100_factors_10_5_2_wgs_250_tpt_10_dim3_sp_ip_CI_sbcc_twdbase8_2step_dirReg
	.globl	fft_rtc_back_len100_factors_10_5_2_wgs_250_tpt_10_dim3_sp_ip_CI_sbcc_twdbase8_2step_dirReg
	.p2align	8
	.type	fft_rtc_back_len100_factors_10_5_2_wgs_250_tpt_10_dim3_sp_ip_CI_sbcc_twdbase8_2step_dirReg,@function
fft_rtc_back_len100_factors_10_5_2_wgs_250_tpt_10_dim3_sp_ip_CI_sbcc_twdbase8_2step_dirReg: ; @fft_rtc_back_len100_factors_10_5_2_wgs_250_tpt_10_dim3_sp_ip_CI_sbcc_twdbase8_2step_dirReg
; %bb.0:
	s_load_dwordx4 s[0:3], s[4:5], 0x10
	s_waitcnt lgkmcnt(0)
	s_load_dwordx2 s[12:13], s[0:1], 0x8
	s_waitcnt lgkmcnt(0)
	s_add_u32 s7, s12, -1
	s_addc_u32 s8, s13, -1
	s_add_u32 s9, 0, 0xd7093700
	s_addc_u32 s10, 0, 51
	s_mul_hi_u32 s14, s9, 0xffffffe7
	s_add_i32 s10, s10, 0xa3d7070
	s_sub_i32 s14, s14, s9
	s_mul_i32 s16, s10, 0xffffffe7
	s_mul_i32 s11, s9, 0xffffffe7
	s_add_i32 s14, s14, s16
	s_mul_hi_u32 s15, s9, s11
	s_mul_i32 s18, s9, s14
	s_mul_hi_u32 s16, s9, s14
	s_mul_hi_u32 s17, s10, s11
	s_mul_i32 s11, s10, s11
	s_add_u32 s15, s15, s18
	s_addc_u32 s16, 0, s16
	s_mul_hi_u32 s19, s10, s14
	s_add_u32 s11, s15, s11
	s_mul_i32 s14, s10, s14
	s_addc_u32 s11, s16, s17
	s_addc_u32 s15, s19, 0
	s_add_u32 s11, s11, s14
	v_add_co_u32 v1, s9, s9, s11
	s_addc_u32 s11, 0, s15
	s_cmp_lg_u32 s9, 0
	s_addc_u32 s9, s10, s11
	v_readfirstlane_b32 s10, v1
	s_mul_i32 s14, s7, s9
	s_mul_hi_u32 s11, s7, s9
	s_mul_hi_u32 s15, s8, s9
	s_mul_i32 s9, s8, s9
	s_mul_hi_u32 s16, s7, s10
	s_mul_hi_u32 s17, s8, s10
	s_mul_i32 s10, s8, s10
	s_add_u32 s14, s16, s14
	s_addc_u32 s11, 0, s11
	s_add_u32 s10, s14, s10
	s_addc_u32 s10, s11, s17
	s_addc_u32 s11, s15, 0
	s_add_u32 s9, s10, s9
	s_addc_u32 s10, 0, s11
	s_mul_i32 s14, s9, 25
	s_add_u32 s11, s9, 1
	v_sub_co_u32 v1, s7, s7, s14
	s_mul_hi_u32 s14, s9, 25
	s_addc_u32 s15, s10, 0
	s_mul_i32 s16, s10, 25
	v_sub_co_u32 v2, s17, v1, 25
	s_add_u32 s18, s9, 2
	s_addc_u32 s19, s10, 0
	s_add_i32 s14, s14, s16
	s_cmp_lg_u32 s7, 0
	v_readfirstlane_b32 s7, v2
	s_subb_u32 s8, s8, s14
	s_cmp_lg_u32 s17, 0
	s_subb_u32 s14, s8, 0
	s_cmp_gt_u32 s7, 24
	s_cselect_b32 s7, -1, 0
	s_cmp_eq_u32 s14, 0
	v_readfirstlane_b32 s14, v1
	s_cselect_b32 s7, s7, -1
	s_cmp_lg_u32 s7, 0
	s_cselect_b32 s11, s18, s11
	s_cselect_b32 s15, s19, s15
	s_cmp_gt_u32 s14, 24
	s_mov_b64 s[18:19], 0
	s_cselect_b32 s7, -1, 0
	s_cmp_eq_u32 s8, 0
	s_cselect_b32 s7, s7, -1
	s_cmp_lg_u32 s7, 0
	s_mov_b32 s7, 0
	s_cselect_b32 s8, s11, s9
	s_cselect_b32 s9, s15, s10
	s_add_u32 s14, s8, 1
	s_addc_u32 s15, s9, 0
	v_cmp_lt_u64_e64 s8, s[6:7], s[14:15]
	s_and_b32 vcc_lo, exec_lo, s8
	s_cbranch_vccnz .LBB0_2
; %bb.1:
	v_cvt_f32_u32_e32 v1, s14
	s_sub_i32 s9, 0, s14
	s_mov_b32 s19, s7
	v_rcp_iflag_f32_e32 v1, v1
	v_mul_f32_e32 v1, 0x4f7ffffe, v1
	v_cvt_u32_f32_e32 v1, v1
	v_readfirstlane_b32 s8, v1
	s_mul_i32 s9, s9, s8
	s_mul_hi_u32 s9, s8, s9
	s_add_i32 s8, s8, s9
	s_mul_hi_u32 s8, s6, s8
	s_mul_i32 s9, s8, s14
	s_add_i32 s10, s8, 1
	s_sub_i32 s9, s6, s9
	s_sub_i32 s11, s9, s14
	s_cmp_ge_u32 s9, s14
	s_cselect_b32 s8, s10, s8
	s_cselect_b32 s9, s11, s9
	s_add_i32 s10, s8, 1
	s_cmp_ge_u32 s9, s14
	s_cselect_b32 s18, s10, s8
.LBB0_2:
	s_load_dwordx2 s[22:23], s[0:1], 0x10
	s_load_dwordx2 s[8:9], s[2:3], 0x8
	s_mov_b64 s[16:17], s[18:19]
	s_waitcnt lgkmcnt(0)
	v_cmp_lt_u64_e64 s0, s[18:19], s[22:23]
	s_and_b32 vcc_lo, exec_lo, s0
	s_cbranch_vccnz .LBB0_4
; %bb.3:
	v_cvt_f32_u32_e32 v1, s22
	s_sub_i32 s1, 0, s22
	v_rcp_iflag_f32_e32 v1, v1
	v_mul_f32_e32 v1, 0x4f7ffffe, v1
	v_cvt_u32_f32_e32 v1, v1
	v_readfirstlane_b32 s0, v1
	s_mul_i32 s1, s1, s0
	s_mul_hi_u32 s1, s0, s1
	s_add_i32 s0, s0, s1
	s_mul_hi_u32 s0, s18, s0
	s_mul_i32 s0, s0, s22
	s_sub_i32 s0, s18, s0
	s_sub_i32 s1, s0, s22
	s_cmp_ge_u32 s0, s22
	s_cselect_b32 s0, s1, s0
	s_sub_i32 s1, s0, s22
	s_cmp_ge_u32 s0, s22
	s_cselect_b32 s16, s1, s0
.LBB0_4:
	s_load_dwordx2 s[10:11], s[4:5], 0x50
	s_clause 0x1
	s_load_dwordx2 s[0:1], s[2:3], 0x0
	s_load_dwordx2 s[20:21], s[2:3], 0x10
	s_mul_i32 s17, s22, s15
	s_mul_hi_u32 s19, s22, s14
	s_mul_i32 s24, s22, s14
	s_add_i32 s17, s19, s17
	s_mul_i32 s19, s23, s14
	s_mov_b64 s[22:23], 0
	s_add_i32 s25, s17, s19
	v_cmp_lt_u64_e64 s7, s[6:7], s[24:25]
	s_and_b32 vcc_lo, exec_lo, s7
	s_cbranch_vccnz .LBB0_6
; %bb.5:
	v_cvt_f32_u32_e32 v1, s24
	s_sub_i32 s17, 0, s24
	v_rcp_iflag_f32_e32 v1, v1
	v_mul_f32_e32 v1, 0x4f7ffffe, v1
	v_cvt_u32_f32_e32 v1, v1
	v_readfirstlane_b32 s7, v1
	s_mul_i32 s17, s17, s7
	s_mul_hi_u32 s17, s7, s17
	s_add_i32 s7, s7, s17
	s_mul_hi_u32 s7, s6, s7
	s_mul_i32 s17, s7, s24
	s_add_i32 s19, s7, 1
	s_sub_i32 s17, s6, s17
	s_sub_i32 s22, s17, s24
	s_cmp_ge_u32 s17, s24
	s_cselect_b32 s7, s19, s7
	s_cselect_b32 s17, s22, s17
	s_add_i32 s19, s7, 1
	s_cmp_ge_u32 s17, s24
	s_cselect_b32 s22, s19, s7
.LBB0_6:
	s_load_dwordx2 s[2:3], s[2:3], 0x18
	s_mul_i32 s7, s18, s15
	s_mul_hi_u32 s15, s18, s14
	s_mul_i32 s14, s18, s14
	v_mul_u32_u24_e32 v1, 0xa3e, v0
	s_add_i32 s15, s15, s7
	s_sub_u32 s6, s6, s14
	s_subb_u32 s7, 0, s15
	s_mul_hi_u32 s14, s6, 25
	s_mul_i32 s7, s7, 25
	v_lshrrev_b32_e32 v1, 16, v1
	s_add_i32 s17, s14, s7
	s_mul_i32 s18, s6, 25
	s_mul_i32 s6, s8, s17
	s_mul_hi_u32 s7, s8, s18
	v_mul_lo_u16 v2, v1, 25
	s_add_i32 s14, s7, s6
	s_mul_i32 s15, s9, s18
	s_load_dwordx2 s[6:7], s[4:5], 0x0
	s_add_i32 s14, s14, s15
	s_waitcnt lgkmcnt(0)
	s_mul_i32 s15, s21, s16
	s_mul_hi_u32 s19, s20, s16
	s_mul_i32 s21, s8, s18
	s_add_i32 s19, s19, s15
	s_mul_i32 s15, s20, s16
	v_sub_nc_u16 v27, v0, v2
	s_mul_i32 s3, s3, s22
	s_mul_hi_u32 s16, s2, s22
	s_add_u32 s15, s15, s21
	s_mul_i32 s2, s2, s22
	s_addc_u32 s14, s19, s14
	s_add_i32 s16, s16, s3
	s_add_u32 s2, s2, s15
	s_addc_u32 s3, s16, s14
	v_and_b32_e32 v33, 0xffff, v27
	s_add_u32 s14, s18, 25
	s_addc_u32 s15, s17, 0
                                        ; kill: def $vgpr2 killed $sgpr0 killed $exec
	v_cmp_gt_u64_e64 s16, s[14:15], s[12:13]
	v_add_co_u32 v3, s18, s18, v33
	v_cmp_le_u64_e64 s14, s[14:15], s[12:13]
	v_add_co_ci_u32_e64 v4, null, s17, 0, s18
	s_and_b32 vcc_lo, exec_lo, s16
	s_cbranch_vccz .LBB0_12
; %bb.7:
	s_mov_b32 s15, exec_lo
                                        ; implicit-def: $vgpr35
                                        ; implicit-def: $vgpr37
                                        ; implicit-def: $vgpr34
                                        ; implicit-def: $vgpr36
                                        ; implicit-def: $vgpr5_vgpr6
	v_cmpx_le_u64_e64 s[12:13], v[3:4]
	s_xor_b32 s15, exec_lo, s15
; %bb.8:
	v_mov_b32_e32 v2, 0
	v_add_nc_u32_e32 v35, 20, v1
	v_add_nc_u32_e32 v37, 40, v1
	;; [unrolled: 1-line block ×5, first 2 shown]
	v_mov_b32_e32 v6, v2
; %bb.9:
	s_or_saveexec_b32 s15, s15
                                        ; implicit-def: $vgpr7
                                        ; implicit-def: $vgpr9
                                        ; implicit-def: $vgpr13
                                        ; implicit-def: $vgpr11
                                        ; implicit-def: $vgpr21
                                        ; implicit-def: $vgpr15
                                        ; implicit-def: $vgpr23
                                        ; implicit-def: $vgpr17
                                        ; implicit-def: $vgpr25
                                        ; implicit-def: $vgpr19
	s_xor_b32 exec_lo, exec_lo, s15
	s_cbranch_execz .LBB0_11
; %bb.10:
	v_mad_u64_u32 v[5:6], null, s8, v33, 0
	v_mad_u64_u32 v[7:8], null, s0, v1, 0
	v_add_nc_u32_e32 v34, 10, v1
	v_add_nc_u32_e32 v35, 20, v1
	;; [unrolled: 1-line block ×3, first 2 shown]
	s_lshl_b64 s[16:17], s[2:3], 3
	v_mov_b32_e32 v2, v6
	v_mad_u64_u32 v[9:10], null, s0, v34, 0
	v_mad_u64_u32 v[15:16], null, s0, v36, 0
	;; [unrolled: 1-line block ×3, first 2 shown]
	v_mov_b32_e32 v2, v8
	s_add_u32 s16, s10, s16
	v_mov_b32_e32 v8, v10
	s_addc_u32 s17, s11, s17
	v_add_nc_u32_e32 v37, 40, v1
	v_mad_u64_u32 v[12:13], null, s1, v1, v[2:3]
	v_mov_b32_e32 v6, v11
	v_mad_u64_u32 v[13:14], null, s0, v35, 0
	v_mad_u64_u32 v[10:11], null, s1, v34, v[8:9]
	v_lshlrev_b64 v[5:6], 3, v[5:6]
	v_mov_b32_e32 v8, v12
	v_mad_u64_u32 v[17:18], null, s0, v37, 0
	v_mov_b32_e32 v2, v14
	v_add_nc_u32_e32 v28, 60, v1
	v_add_co_u32 v40, vcc_lo, s16, v5
	v_add_co_ci_u32_e32 v41, vcc_lo, s17, v6, vcc_lo
	v_lshlrev_b64 v[5:6], 3, v[7:8]
	v_lshlrev_b64 v[7:8], 3, v[9:10]
	v_mad_u64_u32 v[10:11], null, s1, v35, v[2:3]
	v_mov_b32_e32 v9, v16
	v_mov_b32_e32 v2, v18
	v_add_co_u32 v19, vcc_lo, v40, v5
	v_add_nc_u32_e32 v5, 50, v1
	v_add_co_ci_u32_e32 v20, vcc_lo, v41, v6, vcc_lo
	v_mad_u64_u32 v[11:12], null, s1, v36, v[9:10]
	v_mov_b32_e32 v14, v10
	v_add_co_u32 v9, vcc_lo, v40, v7
	v_add_co_ci_u32_e32 v10, vcc_lo, v41, v8, vcc_lo
	v_lshlrev_b64 v[6:7], 3, v[13:14]
	v_mov_b32_e32 v16, v11
	v_mad_u64_u32 v[13:14], null, s1, v37, v[2:3]
	v_add_nc_u32_e32 v29, 0x46, v1
	v_mad_u64_u32 v[23:24], null, s0, v28, 0
	v_lshlrev_b64 v[11:12], 3, v[15:16]
	v_mad_u64_u32 v[15:16], null, s0, v5, 0
	v_add_co_u32 v21, vcc_lo, v40, v6
	v_add_co_ci_u32_e32 v22, vcc_lo, v41, v7, vcc_lo
	v_mad_u64_u32 v[25:26], null, s0, v29, 0
	v_mov_b32_e32 v2, v16
	v_add_co_u32 v11, vcc_lo, v40, v11
	v_add_co_ci_u32_e32 v12, vcc_lo, v41, v12, vcc_lo
	v_mad_u64_u32 v[6:7], null, s1, v5, v[2:3]
	v_mov_b32_e32 v2, v24
	v_mov_b32_e32 v18, v13
	s_clause 0x3
	global_load_dwordx2 v[7:8], v[19:20], off
	global_load_dwordx2 v[9:10], v[9:10], off
	;; [unrolled: 1-line block ×4, first 2 shown]
	v_add_nc_u32_e32 v31, 0x5a, v1
	v_mad_u64_u32 v[19:20], null, s1, v28, v[2:3]
	v_mov_b32_e32 v16, v6
	v_or_b32_e32 v6, 0x50, v1
	v_mov_b32_e32 v2, v26
	v_lshlrev_b64 v[17:18], 3, v[17:18]
	v_lshlrev_b64 v[15:16], 3, v[15:16]
	v_mad_u64_u32 v[20:21], null, s0, v6, 0
	v_mad_u64_u32 v[28:29], null, s1, v29, v[2:3]
	;; [unrolled: 1-line block ×3, first 2 shown]
	v_mov_b32_e32 v24, v19
	v_add_co_u32 v17, vcc_lo, v40, v17
	v_mov_b32_e32 v2, v21
	v_mov_b32_e32 v26, v28
	v_add_co_ci_u32_e32 v18, vcc_lo, v41, v18, vcc_lo
	v_add_co_u32 v15, vcc_lo, v40, v15
	v_mad_u64_u32 v[21:22], null, s1, v6, v[2:3]
	v_mov_b32_e32 v2, v30
	v_lshlrev_b64 v[22:23], 3, v[23:24]
	v_lshlrev_b64 v[24:25], 3, v[25:26]
	v_add_co_ci_u32_e32 v16, vcc_lo, v41, v16, vcc_lo
	v_mad_u64_u32 v[30:31], null, s1, v31, v[2:3]
	v_add_co_u32 v31, vcc_lo, v40, v22
	v_lshlrev_b64 v[19:20], 3, v[20:21]
	v_add_co_ci_u32_e32 v32, vcc_lo, v41, v23, vcc_lo
	v_add_co_u32 v38, vcc_lo, v40, v24
	v_lshlrev_b64 v[21:22], 3, v[29:30]
	v_add_co_ci_u32_e32 v39, vcc_lo, v41, v25, vcc_lo
	v_add_co_u32 v19, vcc_lo, v40, v19
	v_add_co_ci_u32_e32 v20, vcc_lo, v41, v20, vcc_lo
	v_add_co_u32 v28, vcc_lo, v40, v21
	v_add_co_ci_u32_e32 v29, vcc_lo, v41, v22, vcc_lo
	s_clause 0x5
	global_load_dwordx2 v[21:22], v[17:18], off
	global_load_dwordx2 v[15:16], v[15:16], off
	;; [unrolled: 1-line block ×6, first 2 shown]
	v_mov_b32_e32 v2, 0
	v_mov_b32_e32 v6, v2
.LBB0_11:
	s_or_b32 exec_lo, exec_lo, s15
	s_cbranch_execz .LBB0_13
	s_branch .LBB0_14
.LBB0_12:
                                        ; implicit-def: $vgpr7
                                        ; implicit-def: $vgpr9
                                        ; implicit-def: $vgpr13
                                        ; implicit-def: $vgpr11
                                        ; implicit-def: $vgpr21
                                        ; implicit-def: $vgpr15
                                        ; implicit-def: $vgpr23
                                        ; implicit-def: $vgpr17
                                        ; implicit-def: $vgpr25
                                        ; implicit-def: $vgpr19
                                        ; implicit-def: $vgpr35
                                        ; implicit-def: $vgpr37
                                        ; implicit-def: $vgpr34
                                        ; implicit-def: $vgpr36
                                        ; implicit-def: $vgpr5_vgpr6
.LBB0_13:
	v_mad_u64_u32 v[5:6], null, s8, v33, 0
	s_waitcnt vmcnt(9)
	v_mad_u64_u32 v[7:8], null, s0, v1, 0
	v_add_nc_u32_e32 v34, 10, v1
	v_add_nc_u32_e32 v35, 20, v1
	;; [unrolled: 1-line block ×3, first 2 shown]
	s_lshl_b64 s[16:17], s[2:3], 3
	v_mov_b32_e32 v2, v6
	s_waitcnt vmcnt(8)
	v_mad_u64_u32 v[9:10], null, s0, v34, 0
	s_waitcnt vmcnt(4)
	v_mad_u64_u32 v[15:16], null, s0, v36, 0
	v_mad_u64_u32 v[11:12], null, s9, v33, v[2:3]
	v_mov_b32_e32 v2, v8
	s_add_u32 s15, s10, s16
	v_mov_b32_e32 v8, v10
	s_addc_u32 s16, s11, s17
	v_add_nc_u32_e32 v37, 40, v1
	v_mad_u64_u32 v[12:13], null, s1, v1, v[2:3]
	v_mov_b32_e32 v6, v11
	v_mad_u64_u32 v[13:14], null, s0, v35, 0
	v_mad_u64_u32 v[10:11], null, s1, v34, v[8:9]
	v_lshlrev_b64 v[5:6], 3, v[5:6]
	v_mov_b32_e32 v8, v12
	s_waitcnt vmcnt(2)
	v_mad_u64_u32 v[17:18], null, s0, v37, 0
	v_mov_b32_e32 v2, v14
	v_add_nc_u32_e32 v28, 60, v1
	v_add_co_u32 v40, vcc_lo, s15, v5
	v_add_co_ci_u32_e32 v41, vcc_lo, s16, v6, vcc_lo
	v_lshlrev_b64 v[5:6], 3, v[7:8]
	v_lshlrev_b64 v[7:8], 3, v[9:10]
	v_mad_u64_u32 v[10:11], null, s1, v35, v[2:3]
	v_mov_b32_e32 v9, v16
	v_mov_b32_e32 v2, v18
	s_waitcnt vmcnt(0)
	v_add_co_u32 v19, vcc_lo, v40, v5
	v_add_nc_u32_e32 v5, 50, v1
	v_add_co_ci_u32_e32 v20, vcc_lo, v41, v6, vcc_lo
	v_mad_u64_u32 v[11:12], null, s1, v36, v[9:10]
	v_mov_b32_e32 v14, v10
	v_add_co_u32 v9, vcc_lo, v40, v7
	v_add_co_ci_u32_e32 v10, vcc_lo, v41, v8, vcc_lo
	v_lshlrev_b64 v[6:7], 3, v[13:14]
	v_mov_b32_e32 v16, v11
	v_mad_u64_u32 v[13:14], null, s1, v37, v[2:3]
	v_add_nc_u32_e32 v29, 0x46, v1
	v_mad_u64_u32 v[23:24], null, s0, v28, 0
	v_lshlrev_b64 v[11:12], 3, v[15:16]
	v_mad_u64_u32 v[15:16], null, s0, v5, 0
	v_add_co_u32 v21, vcc_lo, v40, v6
	v_add_co_ci_u32_e32 v22, vcc_lo, v41, v7, vcc_lo
	v_mad_u64_u32 v[25:26], null, s0, v29, 0
	v_mov_b32_e32 v2, v16
	v_add_co_u32 v11, vcc_lo, v40, v11
	v_add_co_ci_u32_e32 v12, vcc_lo, v41, v12, vcc_lo
	v_mad_u64_u32 v[6:7], null, s1, v5, v[2:3]
	v_mov_b32_e32 v2, v24
	v_mov_b32_e32 v18, v13
	s_clause 0x3
	global_load_dwordx2 v[7:8], v[19:20], off
	global_load_dwordx2 v[9:10], v[9:10], off
	;; [unrolled: 1-line block ×4, first 2 shown]
	v_add_nc_u32_e32 v31, 0x5a, v1
	v_mad_u64_u32 v[19:20], null, s1, v28, v[2:3]
	v_mov_b32_e32 v16, v6
	v_or_b32_e32 v6, 0x50, v1
	v_mov_b32_e32 v2, v26
	v_lshlrev_b64 v[17:18], 3, v[17:18]
	v_lshlrev_b64 v[15:16], 3, v[15:16]
	v_mad_u64_u32 v[20:21], null, s0, v6, 0
	v_mad_u64_u32 v[28:29], null, s1, v29, v[2:3]
	;; [unrolled: 1-line block ×3, first 2 shown]
	v_mov_b32_e32 v24, v19
	v_add_co_u32 v17, vcc_lo, v40, v17
	v_mov_b32_e32 v2, v21
	v_mov_b32_e32 v26, v28
	v_add_co_ci_u32_e32 v18, vcc_lo, v41, v18, vcc_lo
	v_add_co_u32 v15, vcc_lo, v40, v15
	v_mad_u64_u32 v[21:22], null, s1, v6, v[2:3]
	v_mov_b32_e32 v2, v30
	v_lshlrev_b64 v[22:23], 3, v[23:24]
	v_lshlrev_b64 v[24:25], 3, v[25:26]
	v_add_co_ci_u32_e32 v16, vcc_lo, v41, v16, vcc_lo
	v_mad_u64_u32 v[30:31], null, s1, v31, v[2:3]
	v_add_co_u32 v31, vcc_lo, v40, v22
	v_lshlrev_b64 v[19:20], 3, v[20:21]
	v_add_co_ci_u32_e32 v32, vcc_lo, v41, v23, vcc_lo
	v_add_co_u32 v38, vcc_lo, v40, v24
	v_lshlrev_b64 v[21:22], 3, v[29:30]
	v_add_co_ci_u32_e32 v39, vcc_lo, v41, v25, vcc_lo
	v_add_co_u32 v19, vcc_lo, v40, v19
	v_add_co_ci_u32_e32 v20, vcc_lo, v41, v20, vcc_lo
	v_add_co_u32 v28, vcc_lo, v40, v21
	v_add_co_ci_u32_e32 v29, vcc_lo, v41, v22, vcc_lo
	s_clause 0x5
	global_load_dwordx2 v[21:22], v[17:18], off
	global_load_dwordx2 v[15:16], v[15:16], off
	;; [unrolled: 1-line block ×6, first 2 shown]
	v_mov_b32_e32 v2, 0
	v_mov_b32_e32 v6, v2
.LBB0_14:
	s_waitcnt vmcnt(3)
	v_add_f32_e32 v28, v23, v21
	v_add_f32_e32 v29, v13, v7
	s_waitcnt vmcnt(1)
	v_sub_f32_e32 v30, v14, v26
	v_add_f32_e32 v39, v25, v13
	v_sub_f32_e32 v31, v22, v24
	v_fma_f32 v28, -0.5, v28, v7
	v_sub_f32_e32 v32, v13, v21
	v_sub_f32_e32 v38, v25, v23
	v_add_f32_e32 v29, v21, v29
	v_fmac_f32_e32 v7, -0.5, v39
	v_fmamk_f32 v41, v30, 0xbf737871, v28
	v_fmac_f32_e32 v28, 0x3f737871, v30
	v_add_f32_e32 v42, v14, v8
	v_sub_f32_e32 v40, v21, v13
	v_add_f32_e32 v32, v38, v32
	v_add_f32_e32 v29, v23, v29
	v_fmac_f32_e32 v41, 0xbf167918, v31
	v_sub_f32_e32 v38, v23, v25
	v_fmamk_f32 v39, v31, 0x3f737871, v7
	v_fmac_f32_e32 v28, 0x3f167918, v31
	v_add_f32_e32 v43, v24, v22
	v_fmac_f32_e32 v7, 0xbf737871, v31
	v_add_f32_e32 v31, v22, v42
	v_add_f32_e32 v29, v25, v29
	;; [unrolled: 1-line block ×3, first 2 shown]
	v_fma_f32 v40, -0.5, v43, v8
	v_sub_f32_e32 v13, v13, v25
	v_add_f32_e32 v25, v24, v31
	v_add_f32_e32 v31, v26, v14
	v_fmac_f32_e32 v41, 0x3e9e377a, v32
	v_fmac_f32_e32 v39, 0xbf167918, v30
	;; [unrolled: 1-line block ×4, first 2 shown]
	v_fmamk_f32 v30, v13, 0x3f737871, v40
	v_sub_f32_e32 v21, v21, v23
	v_sub_f32_e32 v23, v14, v22
	;; [unrolled: 1-line block ×3, first 2 shown]
	v_fmac_f32_e32 v8, -0.5, v31
	v_fmac_f32_e32 v40, 0xbf737871, v13
	v_sub_f32_e32 v14, v22, v14
	v_sub_f32_e32 v22, v24, v26
	v_add_f32_e32 v24, v11, v9
	v_fmac_f32_e32 v30, 0x3f167918, v21
	v_fmamk_f32 v31, v21, 0xbf737871, v8
	v_fmac_f32_e32 v40, 0xbf167918, v21
	v_add_f32_e32 v14, v22, v14
	v_fmac_f32_e32 v8, 0x3f737871, v21
	v_add_f32_e32 v21, v15, v24
	v_add_f32_e32 v22, v17, v15
	;; [unrolled: 1-line block ×3, first 2 shown]
	v_fmac_f32_e32 v31, 0x3f167918, v13
	v_fmac_f32_e32 v8, 0xbf167918, v13
	v_add_f32_e32 v13, v17, v21
	v_fma_f32 v21, -0.5, v22, v9
	s_waitcnt vmcnt(0)
	v_add_f32_e32 v22, v19, v11
	v_fmac_f32_e32 v30, 0x3e9e377a, v23
	v_fmac_f32_e32 v40, 0x3e9e377a, v23
	v_sub_f32_e32 v23, v12, v20
	v_fmac_f32_e32 v31, 0x3e9e377a, v14
	v_fmac_f32_e32 v8, 0x3e9e377a, v14
	v_sub_f32_e32 v14, v16, v18
	v_fmac_f32_e32 v9, -0.5, v22
	v_add_f32_e32 v25, v26, v25
	v_fmamk_f32 v22, v23, 0xbf737871, v21
	v_sub_f32_e32 v24, v11, v15
	v_sub_f32_e32 v26, v19, v17
	v_fmac_f32_e32 v21, 0x3f737871, v23
	v_fmamk_f32 v32, v14, 0x3f737871, v9
	v_fmac_f32_e32 v9, 0xbf737871, v14
	v_fmac_f32_e32 v22, 0xbf167918, v14
	v_add_f32_e32 v24, v26, v24
	v_fmac_f32_e32 v21, 0x3f167918, v14
	v_add_f32_e32 v14, v18, v16
	v_fmac_f32_e32 v39, 0x3e9e377a, v38
	v_fmac_f32_e32 v7, 0x3e9e377a, v38
	v_sub_f32_e32 v38, v15, v11
	v_sub_f32_e32 v42, v17, v19
	v_fmac_f32_e32 v32, 0xbf167918, v23
	v_fmac_f32_e32 v9, 0x3f167918, v23
	v_add_f32_e32 v23, v20, v12
	v_fmac_f32_e32 v22, 0x3e9e377a, v24
	v_fmac_f32_e32 v21, 0x3e9e377a, v24
	v_fma_f32 v24, -0.5, v14, v10
	v_sub_f32_e32 v11, v11, v19
	v_add_f32_e32 v26, v42, v38
	v_add_f32_e32 v14, v12, v10
	v_sub_f32_e32 v15, v15, v17
	v_fmac_f32_e32 v10, -0.5, v23
	v_add_f32_e32 v13, v19, v13
	v_fmamk_f32 v17, v11, 0x3f737871, v24
	v_sub_f32_e32 v19, v12, v16
	v_sub_f32_e32 v23, v20, v18
	v_fmac_f32_e32 v32, 0x3e9e377a, v26
	v_fmac_f32_e32 v9, 0x3e9e377a, v26
	v_fmamk_f32 v26, v15, 0xbf737871, v10
	v_sub_f32_e32 v12, v16, v12
	v_sub_f32_e32 v38, v18, v20
	v_fmac_f32_e32 v17, 0x3f167918, v15
	v_add_f32_e32 v19, v23, v19
	v_fmac_f32_e32 v10, 0x3f737871, v15
	v_fmac_f32_e32 v26, 0x3f167918, v11
	v_add_f32_e32 v12, v38, v12
	v_fmac_f32_e32 v24, 0xbf737871, v11
	v_fmac_f32_e32 v17, 0x3e9e377a, v19
	;; [unrolled: 1-line block ×3, first 2 shown]
	v_add_f32_e32 v11, v16, v14
	v_fmac_f32_e32 v26, 0x3e9e377a, v12
	v_fmac_f32_e32 v24, 0xbf167918, v15
	v_mul_f32_e32 v23, 0xbf167918, v17
	v_fmac_f32_e32 v10, 0x3e9e377a, v12
	v_add_f32_e32 v11, v18, v11
	v_mul_f32_e32 v38, 0xbf737871, v26
	v_fmac_f32_e32 v24, 0x3e9e377a, v19
	v_fmac_f32_e32 v23, 0x3f4f1bbd, v22
	v_mul_f32_e32 v42, 0xbf737871, v10
	v_mul_f32_e32 v45, 0x3f167918, v22
	v_fmac_f32_e32 v38, 0x3e9e377a, v32
	v_mul_f32_e32 v44, 0xbf167918, v24
	v_mul_f32_e32 v46, 0xbe9e377a, v10
	v_add_f32_e32 v14, v41, v23
	v_sub_f32_e32 v22, v41, v23
	v_mul_lo_u16 v23, v1, 26
	v_add_f32_e32 v43, v20, v11
	v_fmac_f32_e32 v42, 0xbe9e377a, v9
	v_add_f32_e32 v11, v13, v29
	v_add_f32_e32 v16, v39, v38
	v_fmac_f32_e32 v44, 0xbf4f1bbd, v21
	v_mul_f32_e32 v32, 0x3f737871, v32
	v_mul_f32_e32 v47, 0xbf4f1bbd, v24
	v_fmac_f32_e32 v45, 0x3f4f1bbd, v17
	v_fmac_f32_e32 v46, 0x3f737871, v9
	v_sub_f32_e32 v9, v29, v13
	v_sub_f32_e32 v24, v39, v38
	v_mov_b32_e32 v13, 3
	v_and_b32_e32 v39, 0xff, v34
	v_lshrrev_b16 v29, 8, v23
	v_add_f32_e32 v20, v28, v44
	v_fmac_f32_e32 v32, 0x3e9e377a, v26
	v_fmac_f32_e32 v47, 0x3f167918, v21
	v_add_f32_e32 v15, v30, v45
	v_sub_f32_e32 v26, v28, v44
	v_mul_u32_u24_e32 v28, 0x7d0, v1
	v_lshlrev_b32_sdwa v38, v13, v27 dst_sel:DWORD dst_unused:UNUSED_PAD src0_sel:DWORD src1_sel:WORD_0
	v_sub_f32_e32 v23, v30, v45
	v_mul_lo_u16 v30, 0xcd, v39
	v_mul_lo_u16 v27, v29, 10
	v_add_f32_e32 v12, v43, v25
	v_add_f32_e32 v17, v31, v32
	;; [unrolled: 1-line block ×3, first 2 shown]
	v_sub_f32_e32 v10, v25, v43
	v_sub_f32_e32 v25, v31, v32
	v_add3_u32 v31, 0, v28, v38
	v_lshrrev_b16 v30, 11, v30
	v_add_f32_e32 v18, v7, v42
	v_add_f32_e32 v19, v8, v46
	v_sub_nc_u16 v28, v1, v27
	ds_write2_b64 v31, v[11:12], v[14:15] offset1:25
	ds_write2_b64 v31, v[16:17], v[18:19] offset0:50 offset1:75
	ds_write2_b64 v31, v[20:21], v[9:10] offset0:100 offset1:125
	v_mul_lo_u16 v9, v30, 10
	v_and_b32_e32 v11, 0xff, v28
	v_sub_f32_e32 v7, v7, v42
	v_sub_f32_e32 v8, v8, v46
	;; [unrolled: 1-line block ×3, first 2 shown]
	v_sub_nc_u16 v14, v34, v9
	v_lshlrev_b32_e32 v12, 5, v11
	ds_write2_b64 v31, v[22:23], v[24:25] offset0:150 offset1:175
	ds_write2_b64 v31, v[7:8], v[26:27] offset0:200 offset1:225
	s_waitcnt lgkmcnt(0)
	v_and_b32_e32 v14, 0xff, v14
	s_barrier
	buffer_gl0_inv
	s_clause 0x1
	global_load_dwordx4 v[7:10], v12, s[6:7]
	global_load_dwordx4 v[17:20], v12, s[6:7] offset:16
	v_lshlrev_b32_e32 v12, 5, v14
	s_clause 0x1
	global_load_dwordx4 v[21:24], v12, s[6:7]
	global_load_dwordx4 v[25:28], v12, s[6:7] offset:16
	v_cmp_gt_u64_e32 vcc_lo, s[12:13], v[3:4]
	v_mul_i32_i24_e32 v4, 0xc8, v35
	v_mul_i32_i24_e32 v12, 0xc8, v37
	v_mad_i32_i24 v41, 0xfffff8f8, v1, v31
	v_and_b32_e32 v15, 0xffff, v29
	v_and_b32_e32 v29, 0xffff, v30
	v_add3_u32 v39, 0, v4, v38
	v_add3_u32 v42, 0, v12, v38
	v_add_nc_u32_e32 v4, 0x2700, v41
	v_mad_u32_u24 v30, v15, 50, v11
	v_add_nc_u32_e32 v16, 0x36a0, v41
	ds_read_b64 v[11:12], v39
	v_mad_u32_u24 v43, v29, 50, v14
	ds_read_b64 v[14:15], v42
	v_mul_i32_i24_e32 v40, 0xc8, v34
	v_mul_u32_u24_e32 v47, 0xc8, v30
	ds_read2_b64 v[29:32], v4 offset0:2 offset1:252
	v_add_nc_u32_e32 v48, 0x1400, v41
	v_mul_u32_u24_e32 v55, 0xc8, v43
	ds_read2_b64 v[43:46], v16 offset0:2 offset1:252
	v_add3_u32 v40, 0, v40, v38
	v_add3_u32 v56, 0, v47, v38
	ds_read2_b32 v[47:48], v48 offset0:220 offset1:221
	ds_read_b64 v[49:50], v41
	ds_read_b64 v[51:52], v41 offset:18000
	ds_read_b64 v[53:54], v40
	v_add3_u32 v55, 0, v55, v38
	s_or_b32 s12, s14, vcc_lo
	s_waitcnt vmcnt(0) lgkmcnt(0)
	v_add_nc_u32_e32 v57, 0xf80, v56
	s_barrier
	v_add_nc_u32_e32 v58, 0xf80, v55
	buffer_gl0_inv
	v_mul_f32_e32 v59, v8, v12
	v_mul_f32_e32 v8, v8, v11
	;; [unrolled: 1-line block ×5, first 2 shown]
	v_fmac_f32_e32 v59, v7, v11
	v_fma_f32 v11, v7, v12, -v8
	v_mul_f32_e32 v7, v18, v31
	v_mul_f32_e32 v62, v20, v46
	;; [unrolled: 1-line block ×3, first 2 shown]
	v_fmac_f32_e32 v60, v9, v14
	v_fma_f32 v12, v9, v15, -v10
	v_mul_f32_e32 v14, v30, v24
	v_mul_f32_e32 v9, v29, v24
	;; [unrolled: 1-line block ×6, first 2 shown]
	v_fmac_f32_e32 v61, v17, v31
	v_fma_f32 v17, v17, v32, -v7
	v_fmac_f32_e32 v62, v19, v45
	v_fma_f32 v22, v19, v46, -v8
	v_mul_f32_e32 v7, v43, v26
	v_mul_f32_e32 v8, v51, v28
	v_fmac_f32_e32 v14, v29, v23
	v_fmac_f32_e32 v15, v21, v47
	;; [unrolled: 1-line block ×4, first 2 shown]
	v_fma_f32 v19, v30, v23, -v9
	v_fma_f32 v20, v48, v21, -v10
	;; [unrolled: 1-line block ×4, first 2 shown]
	v_add_f32_e32 v7, v60, v61
	v_sub_f32_e32 v8, v59, v60
	v_sub_f32_e32 v9, v62, v61
	v_add_f32_e32 v10, v59, v62
	v_add_f32_e32 v29, v12, v17
	v_sub_f32_e32 v30, v11, v12
	v_sub_f32_e32 v31, v22, v17
	v_add_f32_e32 v32, v11, v22
	v_sub_f32_e32 v26, v60, v59
	v_sub_f32_e32 v27, v61, v62
	v_add_f32_e32 v23, v49, v59
	v_add_f32_e32 v28, v50, v11
	;; [unrolled: 1-line block ×3, first 2 shown]
	v_sub_f32_e32 v47, v15, v14
	v_sub_f32_e32 v48, v24, v18
	v_add_f32_e32 v51, v15, v24
	v_sub_f32_e32 v52, v14, v15
	v_sub_f32_e32 v63, v18, v24
	;; [unrolled: 1-line block ×4, first 2 shown]
	v_add_f32_e32 v45, v53, v15
	v_add_f32_e32 v64, v8, v9
	v_fma_f32 v7, -0.5, v7, v49
	v_fma_f32 v49, -0.5, v10, v49
	v_add_f32_e32 v10, v19, v21
	v_fma_f32 v8, -0.5, v29, v50
	v_add_f32_e32 v30, v30, v31
	v_add_f32_e32 v31, v20, v25
	v_fmac_f32_e32 v50, -0.5, v32
	v_add_f32_e32 v32, v54, v20
	v_add_f32_e32 v26, v26, v27
	v_sub_f32_e32 v27, v20, v19
	v_sub_f32_e32 v29, v25, v21
	v_add_f32_e32 v47, v47, v48
	v_fma_f32 v9, -0.5, v46, v53
	v_fma_f32 v53, -0.5, v51, v53
	v_sub_f32_e32 v48, v11, v22
	v_add_f32_e32 v51, v52, v63
	v_sub_f32_e32 v52, v12, v17
	v_sub_f32_e32 v59, v59, v62
	v_add_f32_e32 v11, v23, v60
	v_add_f32_e32 v12, v28, v12
	;; [unrolled: 1-line block ×3, first 2 shown]
	v_sub_f32_e32 v44, v19, v20
	v_sub_f32_e32 v46, v21, v25
	v_fma_f32 v10, -0.5, v10, v54
	v_sub_f32_e32 v63, v60, v61
	v_fmac_f32_e32 v54, -0.5, v31
	v_sub_f32_e32 v31, v14, v18
	v_sub_f32_e32 v66, v15, v24
	v_add_f32_e32 v15, v32, v19
	v_add_f32_e32 v14, v45, v14
	v_sub_f32_e32 v65, v20, v25
	v_add_f32_e32 v27, v27, v29
	v_sub_f32_e32 v29, v19, v21
	v_add_f32_e32 v23, v11, v61
	v_add_f32_e32 v32, v12, v17
	v_fmamk_f32 v11, v48, 0xbf737871, v7
	v_fmamk_f32 v12, v59, 0x3f737871, v8
	v_add_f32_e32 v28, v44, v46
	v_add_f32_e32 v44, v14, v18
	v_add_f32_e32 v45, v15, v21
	v_fmamk_f32 v14, v52, 0x3f737871, v49
	v_fmac_f32_e32 v49, 0xbf737871, v52
	v_fmamk_f32 v15, v63, 0xbf737871, v50
	v_fmac_f32_e32 v50, 0x3f737871, v63
	v_fmac_f32_e32 v7, 0x3f737871, v48
	;; [unrolled: 1-line block ×3, first 2 shown]
	v_fmamk_f32 v17, v65, 0xbf737871, v9
	v_fmamk_f32 v18, v66, 0x3f737871, v10
	;; [unrolled: 1-line block ×3, first 2 shown]
	v_fmac_f32_e32 v53, 0xbf737871, v29
	v_fmamk_f32 v20, v31, 0xbf737871, v54
	v_fmac_f32_e32 v54, 0x3f737871, v31
	v_fmac_f32_e32 v9, 0x3f737871, v65
	;; [unrolled: 1-line block ×17, first 2 shown]
	v_add_f32_e32 v21, v23, v62
	v_add_f32_e32 v22, v32, v22
	v_fmac_f32_e32 v9, 0x3f167918, v29
	v_fmac_f32_e32 v10, 0xbf167918, v31
	;; [unrolled: 1-line block ×10, first 2 shown]
	v_add_f32_e32 v23, v44, v24
	v_add_f32_e32 v24, v45, v25
	v_fmac_f32_e32 v17, 0x3e9e377a, v47
	v_fmac_f32_e32 v18, 0x3e9e377a, v27
	;; [unrolled: 1-line block ×8, first 2 shown]
	ds_write2_b64 v56, v[21:22], v[11:12] offset1:250
	ds_write2_b64 v57, v[14:15], v[49:50] offset0:4 offset1:254
	ds_write_b64 v56, v[7:8] offset:8000
	ds_write2_b64 v55, v[23:24], v[17:18] offset1:250
	ds_write2_b64 v58, v[19:20], v[53:54] offset0:4 offset1:254
	ds_write_b64 v55, v[9:10] offset:8000
	s_waitcnt lgkmcnt(0)
	s_barrier
	buffer_gl0_inv
	s_and_saveexec_b32 s13, s12
	s_cbranch_execz .LBB0_16
; %bb.15:
	v_subrev_nc_u32_e32 v7, 20, v1
	v_cmp_gt_u32_e32 vcc_lo, 0x1f4, v0
	v_mov_b32_e32 v8, 0
	v_subrev_nc_u32_e32 v11, 30, v1
	v_lshlrev_b64 v[21:22], 3, v[1:2]
	s_load_dwordx2 s[4:5], s[4:5], 0x8
	v_cndmask_b32_e32 v9, v7, v36, vcc_lo
	v_cmp_gt_u32_e32 vcc_lo, 0x2ee, v0
	v_mov_b32_e32 v10, v8
	v_mov_b32_e32 v12, v8
	v_subrev_nc_u32_e32 v7, 40, v1
	s_lshl_b64 s[2:3], s[2:3], 3
	v_cndmask_b32_e32 v11, v11, v35, vcc_lo
	v_lshlrev_b64 v[14:15], 3, v[9:10]
	v_mul_lo_u32 v10, v3, v5
	s_add_u32 s2, s10, s2
	s_addc_u32 s3, s11, s3
	v_lshlrev_b64 v[17:18], 3, v[11:12]
	v_mul_lo_u32 v12, v3, v1
	v_add_co_u32 v19, vcc_lo, s6, v14
	v_add_co_ci_u32_e32 v20, vcc_lo, s7, v15, vcc_lo
	v_add_co_u32 v17, vcc_lo, s6, v17
	v_add_co_ci_u32_e32 v18, vcc_lo, s7, v18, vcc_lo
	v_cmp_gt_u32_e32 vcc_lo, 0x3e8, v0
	v_mov_b32_e32 v15, v8
	s_clause 0x1
	global_load_dwordx2 v[19:20], v[19:20], off offset:320
	global_load_dwordx2 v[27:28], v[17:18], off offset:320
	v_cndmask_b32_e32 v14, v7, v34, vcc_lo
	v_add_co_u32 v21, vcc_lo, s6, v21
	v_add_co_ci_u32_e32 v22, vcc_lo, s7, v22, vcc_lo
	v_lshlrev_b64 v[17:18], 3, v[14:15]
	v_add_nc_u32_e32 v7, -10, v1
	v_bfe_u32 v15, v10, 8, 8
	v_lshlrev_b32_sdwa v10, v13, v10 dst_sel:DWORD dst_unused:UNUSED_PAD src0_sel:DWORD src1_sel:BYTE_0
	v_add_co_u32 v17, vcc_lo, s6, v17
	v_add_co_ci_u32_e32 v18, vcc_lo, s7, v18, vcc_lo
	s_clause 0x1
	global_load_dwordx2 v[29:30], v[21:22], off offset:320
	global_load_dwordx2 v[48:49], v[17:18], off offset:320
	v_cmp_gt_u32_e32 vcc_lo, 0xfa, v0
	v_bfe_u32 v0, v12, 8, 8
	v_lshlrev_b32_sdwa v12, v13, v12 dst_sel:DWORD dst_unused:UNUSED_PAD src0_sel:DWORD src1_sel:BYTE_0
	v_lshl_or_b32 v15, v15, 3, 0x800
	s_waitcnt lgkmcnt(0)
	s_clause 0x1
	global_load_dwordx2 v[50:51], v10, s[4:5]
	global_load_dwordx2 v[52:53], v15, s[4:5]
	v_cndmask_b32_e32 v7, v7, v37, vcc_lo
	v_lshl_or_b32 v0, v0, 3, 0x800
	s_clause 0x1
	global_load_dwordx2 v[54:55], v12, s[4:5]
	global_load_dwordx2 v[56:57], v0, s[4:5]
	v_add_nc_u32_e32 v21, 50, v7
	v_lshlrev_b64 v[17:18], 3, v[7:8]
	v_mul_lo_u32 v0, v3, v7
	v_add_nc_u32_e32 v12, 50, v9
	v_sub_nc_u32_e32 v7, v37, v7
	v_mul_lo_u32 v8, v3, v21
	v_mul_lo_u32 v21, v3, v14
	v_add_co_u32 v17, vcc_lo, s6, v17
	v_mul_lo_u32 v12, v3, v12
	v_bfe_u32 v15, v0, 8, 8
	v_add_co_ci_u32_e32 v18, vcc_lo, s7, v18, vcc_lo
	v_bfe_u32 v10, v8, 8, 8
	v_lshlrev_b32_sdwa v8, v13, v8 dst_sel:DWORD dst_unused:UNUSED_PAD src0_sel:DWORD src1_sel:BYTE_0
	v_lshlrev_b32_sdwa v0, v13, v0 dst_sel:DWORD dst_unused:UNUSED_PAD src0_sel:DWORD src1_sel:BYTE_0
	v_lshl_or_b32 v15, v15, 3, 0x800
	global_load_dwordx2 v[58:59], v[17:18], off offset:320
	v_lshl_or_b32 v10, v10, 3, 0x800
	s_clause 0x3
	global_load_dwordx2 v[60:61], v8, s[4:5]
	global_load_dwordx2 v[62:63], v10, s[4:5]
	;; [unrolled: 1-line block ×4, first 2 shown]
	v_bfe_u32 v0, v12, 8, 8
	v_lshlrev_b32_sdwa v8, v13, v12 dst_sel:DWORD dst_unused:UNUSED_PAD src0_sel:DWORD src1_sel:BYTE_0
	v_mul_lo_u32 v10, v3, v11
	v_add_nc_u32_e32 v12, 50, v14
	v_lshlrev_b32_sdwa v70, v13, v21 dst_sel:DWORD dst_unused:UNUSED_PAD src0_sel:DWORD src1_sel:BYTE_0
	v_lshl_or_b32 v0, v0, 3, 0x800
	s_clause 0x1
	global_load_dwordx2 v[31:32], v8, s[4:5]
	global_load_dwordx2 v[68:69], v0, s[4:5]
	ds_read2_b64 v[15:18], v16 offset0:2 offset1:252
	v_mul_lo_u32 v0, v3, v9
	ds_read2_b64 v[44:47], v4 offset0:2 offset1:252
	v_add_nc_u32_e32 v8, 50, v11
	v_bfe_u32 v21, v21, 8, 8
	v_sub_nc_u32_e32 v9, v36, v9
	v_add_nc_u32_e32 v78, v7, v37
	v_sub_nc_u32_e32 v11, v35, v11
	v_mul_lo_u32 v4, v3, v8
	v_lshlrev_b32_sdwa v8, v13, v0 dst_sel:DWORD dst_unused:UNUSED_PAD src0_sel:DWORD src1_sel:BYTE_0
	v_bfe_u32 v0, v0, 8, 8
	v_mul_lo_u32 v3, v3, v12
	v_lshlrev_b32_sdwa v12, v13, v10 dst_sel:DWORD dst_unused:UNUSED_PAD src0_sel:DWORD src1_sel:BYTE_0
	v_bfe_u32 v10, v10, 8, 8
	v_lshl_or_b32 v73, v21, 3, 0x800
	v_lshl_or_b32 v0, v0, 3, 0x800
	s_clause 0x1
	global_load_dwordx2 v[23:24], v8, s[4:5]
	global_load_dwordx2 v[25:26], v0, s[4:5]
	v_lshl_or_b32 v71, v10, 3, 0x800
	v_lshlrev_b32_sdwa v72, v13, v3 dst_sel:DWORD dst_unused:UNUSED_PAD src0_sel:DWORD src1_sel:BYTE_0
	v_bfe_u32 v3, v3, 8, 8
	v_lshlrev_b32_sdwa v22, v13, v4 dst_sel:DWORD dst_unused:UNUSED_PAD src0_sel:DWORD src1_sel:BYTE_0
	v_bfe_u32 v4, v4, 8, 8
	v_lshl_or_b32 v4, v4, 3, 0x800
	s_waitcnt vmcnt(16) lgkmcnt(1)
	v_mul_f32_e32 v10, v20, v17
	v_mul_f32_e32 v0, v20, v18
	s_waitcnt vmcnt(15)
	v_mul_f32_e32 v8, v28, v16
	v_lshl_or_b32 v20, v3, 3, 0x800
	v_mul_f32_e32 v3, v28, v15
	v_fma_f32 v10, v19, v18, -v10
	v_fmac_f32_e32 v0, v19, v17
	v_fmac_f32_e32 v8, v27, v15
	v_fma_f32 v43, v27, v16, -v3
	s_clause 0x3
	global_load_dwordx2 v[17:18], v22, s[4:5]
	global_load_dwordx2 v[21:22], v4, s[4:5]
	;; [unrolled: 1-line block ×4, first 2 shown]
	s_waitcnt vmcnt(18) lgkmcnt(0)
	v_mul_f32_e32 v19, v30, v44
	v_mul_f32_e32 v74, v30, v45
	s_waitcnt vmcnt(17)
	v_mul_f32_e32 v15, v49, v46
	v_mul_f32_e32 v76, v49, v47
	v_fma_f32 v75, v29, v45, -v19
	v_fmac_f32_e32 v74, v29, v44
	v_fma_f32 v77, v48, v47, -v15
	s_clause 0x3
	global_load_dwordx2 v[27:28], v72, s[4:5]
	global_load_dwordx2 v[29:30], v20, s[4:5]
	;; [unrolled: 1-line block ×4, first 2 shown]
	v_fmac_f32_e32 v76, v48, v46
	v_mul_lo_u32 v46, s1, v5
	v_mul_lo_u32 v47, s0, v6
	v_mad_u64_u32 v[5:6], null, s0, v5, 0
	v_mul_lo_u32 v44, s1, v1
	v_mul_lo_u32 v45, s0, v2
	v_mad_u64_u32 v[1:2], null, s0, v1, 0
	v_mul_i32_i24_e32 v48, 0xc8, v36
	s_waitcnt vmcnt(19)
	v_mul_f32_e32 v7, v51, v53
	v_add3_u32 v6, v6, v47, v46
	ds_read_b64 v[46:47], v42
	v_mul_f32_e32 v79, v50, v53
	v_add3_u32 v72, 0, v48, v38
	ds_read_b64 v[48:49], v41 offset:18000
	ds_read_b64 v[41:42], v41
	v_add3_u32 v2, v2, v45, v44
	v_mad_u64_u32 v[44:45], null, s8, v33, 0
	v_sub_nc_u32_e32 v38, v34, v14
	v_add_nc_u32_e32 v73, v9, v36
	s_waitcnt vmcnt(17)
	v_mul_f32_e32 v9, v55, v57
	v_fma_f32 v80, v50, v52, -v7
	v_fmac_f32_e32 v79, v51, v52
	v_mul_f32_e32 v81, v54, v57
	v_mov_b32_e32 v14, v45
	v_fma_f32 v82, v54, v56, -v9
	v_lshlrev_b64 v[1:2], 3, v[1:2]
	s_waitcnt vmcnt(12)
	v_mul_f32_e32 v9, v65, v67
	v_fmac_f32_e32 v81, v55, v56
	v_lshlrev_b64 v[5:6], 3, v[5:6]
	s_waitcnt lgkmcnt(1)
	v_mul_f32_e32 v7, v59, v48
	v_mul_f32_e32 v83, v59, v49
	v_fmac_f32_e32 v83, v58, v48
	s_waitcnt vmcnt(1)
	v_mad_u64_u32 v[70:71], null, s9, v33, v[14:15]
	v_add_nc_u32_e32 v14, v38, v34
	v_add_nc_u32_e32 v71, v11, v35
	v_mad_u64_u32 v[37:38], null, s0, v73, 0
	v_add_nc_u32_e32 v52, 50, v14
	v_mad_u64_u32 v[33:34], null, s0, v14, 0
	v_mov_b32_e32 v45, v70
	v_fma_f32 v70, v58, v49, -v7
	v_mul_f32_e32 v7, v61, v63
	v_mul_f32_e32 v63, v60, v63
	v_mad_u64_u32 v[50:51], null, s0, v52, 0
	v_mad_u64_u32 v[35:36], null, s0, v71, 0
	v_fma_f32 v60, v60, v62, -v7
	v_fmac_f32_e32 v63, v61, v62
	v_lshlrev_b64 v[44:45], 3, v[44:45]
	v_fma_f32 v62, v64, v66, -v9
	v_mul_f32_e32 v9, v32, v69
	v_mul_f32_e32 v61, v64, v67
	v_mov_b32_e32 v7, v34
	v_add_nc_u32_e32 v56, 50, v71
	v_add_co_u32 v64, vcc_lo, s2, v44
	v_fma_f32 v67, v31, v68, -v9
	v_mov_b32_e32 v9, v51
	v_mad_u64_u32 v[48:49], null, s0, v78, 0
	v_fmac_f32_e32 v61, v65, v66
	v_add_co_ci_u32_e32 v65, vcc_lo, s3, v45, vcc_lo
	v_mul_f32_e32 v66, v31, v69
	v_mad_u64_u32 v[44:45], null, s1, v14, v[7:8]
	v_mov_b32_e32 v7, v36
	v_mad_u64_u32 v[51:52], null, s1, v52, v[9:10]
	v_mov_b32_e32 v11, v38
	v_mad_u64_u32 v[52:53], null, s0, v56, 0
	v_fmac_f32_e32 v66, v32, v68
	v_mad_u64_u32 v[31:32], null, s1, v71, v[7:8]
	v_mad_u64_u32 v[54:55], null, s1, v73, v[11:12]
	v_mov_b32_e32 v7, v49
	v_add_nc_u32_e32 v11, 50, v73
	v_mov_b32_e32 v9, v53
	v_mov_b32_e32 v34, v44
	;; [unrolled: 1-line block ×3, first 2 shown]
	v_mad_u64_u32 v[31:32], null, s1, v78, v[7:8]
	v_mov_b32_e32 v38, v54
	v_mad_u64_u32 v[44:45], null, s0, v11, 0
	v_mad_u64_u32 v[53:54], null, s1, v56, v[9:10]
	v_add_nc_u32_e32 v9, 50, v78
	v_mov_b32_e32 v49, v31
	ds_read_b64 v[54:55], v39
	s_waitcnt lgkmcnt(1)
	v_sub_f32_e32 v14, v41, v74
	v_mov_b32_e32 v7, v45
	v_mad_u64_u32 v[31:32], null, s0, v9, 0
	v_add_co_u32 v1, vcc_lo, v64, v1
	v_mad_u64_u32 v[56:57], null, s1, v11, v[7:8]
	v_sub_f32_e32 v11, v42, v75
	v_add_co_ci_u32_e32 v2, vcc_lo, v65, v2, vcc_lo
	v_mov_b32_e32 v7, v32
	v_lshlrev_b64 v[32:33], 3, v[33:34]
	v_lshlrev_b64 v[34:35], 3, v[35:36]
	v_mov_b32_e32 v45, v56
	v_fma_f32 v56, v41, 2.0, -v14
	v_mad_u64_u32 v[57:58], null, s1, v9, v[7:8]
	ds_read_b64 v[58:59], v72
	ds_read_b64 v[39:40], v40
	v_mul_f32_e32 v7, v24, v26
	v_mul_f32_e32 v26, v23, v26
	v_lshlrev_b64 v[36:37], 3, v[37:38]
	v_fma_f32 v38, v42, 2.0, -v11
	v_lshlrev_b64 v[41:42], 3, v[48:49]
	v_fma_f32 v23, v23, v25, -v7
	v_fmac_f32_e32 v26, v24, v25
	v_mul_f32_e32 v24, v14, v79
	v_mul_f32_e32 v7, v11, v79
	v_sub_f32_e32 v25, v47, v70
	s_waitcnt lgkmcnt(2)
	v_sub_f32_e32 v69, v54, v8
	v_add_co_u32 v5, vcc_lo, v64, v5
	v_fma_f32 v8, v11, v80, -v24
	v_mul_f32_e32 v24, v27, v30
	v_sub_f32_e32 v43, v55, v43
	v_mul_f32_e32 v9, v38, v81
	v_fmac_f32_e32 v7, v14, v80
	s_waitcnt lgkmcnt(1)
	v_sub_f32_e32 v68, v58, v0
	v_mul_f32_e32 v0, v56, v81
	v_sub_f32_e32 v49, v59, v10
	s_waitcnt lgkmcnt(0)
	v_sub_f32_e32 v70, v40, v77
	v_sub_f32_e32 v71, v39, v76
	v_mul_f32_e32 v14, v4, v13
	v_fma_f32 v10, v38, v82, -v0
	v_mul_f32_e32 v0, v28, v30
	s_waitcnt vmcnt(0)
	v_mul_f32_e32 v30, v16, v20
	v_mul_f32_e32 v20, v15, v20
	;; [unrolled: 1-line block ×3, first 2 shown]
	v_add_co_ci_u32_e32 v6, vcc_lo, v65, v6, vcc_lo
	v_mul_f32_e32 v11, v18, v22
	v_mul_f32_e32 v22, v17, v22
	v_add_co_u32 v32, vcc_lo, v64, v32
	v_fma_f32 v40, v40, 2.0, -v70
	v_fma_f32 v39, v39, 2.0, -v71
	v_fmac_f32_e32 v20, v16, v19
	v_add_co_ci_u32_e32 v33, vcc_lo, v65, v33, vcc_lo
	v_fmac_f32_e32 v9, v56, v82
	v_fma_f32 v55, v55, 2.0, -v43
	v_fma_f32 v54, v54, 2.0, -v69
	v_fmac_f32_e32 v13, v4, v12
	v_fmac_f32_e32 v24, v28, v29
	v_lshlrev_b64 v[50:51], 3, v[50:51]
	v_add_co_u32 v34, vcc_lo, v64, v34
	v_fmac_f32_e32 v22, v18, v21
	v_add_co_ci_u32_e32 v35, vcc_lo, v65, v35, vcc_lo
	v_lshlrev_b64 v[52:53], 3, v[52:53]
	v_add_co_u32 v36, vcc_lo, v64, v36
	v_fma_f32 v17, v17, v21, -v11
	v_fma_f32 v18, v3, v12, -v14
	v_fma_f32 v21, v27, v29, -v0
	v_fma_f32 v27, v15, v19, -v30
	v_mul_f32_e32 v15, v39, v20
	v_mul_f32_e32 v14, v40, v20
	global_store_dwordx2 v[1:2], v[9:10], off
	global_store_dwordx2 v[5:6], v[7:8], off
	v_mul_f32_e32 v11, v54, v13
	v_mul_f32_e32 v10, v55, v13
	;; [unrolled: 1-line block ×4, first 2 shown]
	v_add_co_ci_u32_e32 v37, vcc_lo, v65, v37, vcc_lo
	v_add_co_u32 v50, vcc_lo, v64, v50
	v_mul_f32_e32 v9, v69, v22
	v_mul_f32_e32 v8, v43, v22
	v_add_co_ci_u32_e32 v51, vcc_lo, v65, v51, vcc_lo
	v_fma_f32 v15, v40, v27, -v15
	v_fmac_f32_e32 v14, v39, v27
	v_add_co_u32 v52, vcc_lo, v64, v52
	v_fma_f32 v13, v70, v21, -v13
	v_fmac_f32_e32 v12, v71, v21
	v_sub_f32_e32 v48, v46, v83
	v_fma_f32 v11, v55, v18, -v11
	v_fmac_f32_e32 v10, v54, v18
	v_add_co_ci_u32_e32 v53, vcc_lo, v65, v53, vcc_lo
	v_fma_f32 v9, v43, v17, -v9
	v_fmac_f32_e32 v8, v69, v17
	v_lshlrev_b64 v[44:45], 3, v[44:45]
	v_fma_f32 v38, v47, 2.0, -v25
	v_fma_f32 v47, v59, 2.0, -v49
	;; [unrolled: 1-line block ×3, first 2 shown]
	global_store_dwordx2 v[32:33], v[14:15], off
	global_store_dwordx2 v[50:51], v[12:13], off
	;; [unrolled: 1-line block ×4, first 2 shown]
	v_mov_b32_e32 v32, v57
	v_fma_f32 v46, v46, 2.0, -v48
	v_mul_f32_e32 v6, v47, v26
	v_mul_f32_e32 v7, v56, v26
	v_add_co_u32 v8, vcc_lo, v64, v44
	v_lshlrev_b64 v[10:11], 3, v[31:32]
	v_mul_f32_e32 v5, v68, v66
	v_mul_f32_e32 v4, v49, v66
	;; [unrolled: 1-line block ×4, first 2 shown]
	v_add_co_ci_u32_e32 v9, vcc_lo, v65, v45, vcc_lo
	v_mul_f32_e32 v1, v48, v63
	v_mul_f32_e32 v0, v25, v63
	v_add_co_u32 v12, vcc_lo, v64, v41
	v_fma_f32 v7, v47, v23, -v7
	v_fmac_f32_e32 v6, v56, v23
	v_add_co_ci_u32_e32 v13, vcc_lo, v65, v42, vcc_lo
	v_fma_f32 v5, v49, v67, -v5
	v_fmac_f32_e32 v4, v68, v67
	v_add_co_u32 v10, vcc_lo, v64, v10
	v_fma_f32 v3, v38, v62, -v3
	v_fmac_f32_e32 v2, v46, v62
	v_fma_f32 v1, v25, v60, -v1
	v_fmac_f32_e32 v0, v48, v60
	v_add_co_ci_u32_e32 v11, vcc_lo, v65, v11, vcc_lo
	global_store_dwordx2 v[36:37], v[6:7], off
	global_store_dwordx2 v[8:9], v[4:5], off
	;; [unrolled: 1-line block ×4, first 2 shown]
.LBB0_16:
	s_endpgm
	.section	.rodata,"a",@progbits
	.p2align	6, 0x0
	.amdhsa_kernel fft_rtc_back_len100_factors_10_5_2_wgs_250_tpt_10_dim3_sp_ip_CI_sbcc_twdbase8_2step_dirReg
		.amdhsa_group_segment_fixed_size 0
		.amdhsa_private_segment_fixed_size 0
		.amdhsa_kernarg_size 88
		.amdhsa_user_sgpr_count 6
		.amdhsa_user_sgpr_private_segment_buffer 1
		.amdhsa_user_sgpr_dispatch_ptr 0
		.amdhsa_user_sgpr_queue_ptr 0
		.amdhsa_user_sgpr_kernarg_segment_ptr 1
		.amdhsa_user_sgpr_dispatch_id 0
		.amdhsa_user_sgpr_flat_scratch_init 0
		.amdhsa_user_sgpr_private_segment_size 0
		.amdhsa_wavefront_size32 1
		.amdhsa_uses_dynamic_stack 0
		.amdhsa_system_sgpr_private_segment_wavefront_offset 0
		.amdhsa_system_sgpr_workgroup_id_x 1
		.amdhsa_system_sgpr_workgroup_id_y 0
		.amdhsa_system_sgpr_workgroup_id_z 0
		.amdhsa_system_sgpr_workgroup_info 0
		.amdhsa_system_vgpr_workitem_id 0
		.amdhsa_next_free_vgpr 84
		.amdhsa_next_free_sgpr 26
		.amdhsa_reserve_vcc 1
		.amdhsa_reserve_flat_scratch 0
		.amdhsa_float_round_mode_32 0
		.amdhsa_float_round_mode_16_64 0
		.amdhsa_float_denorm_mode_32 3
		.amdhsa_float_denorm_mode_16_64 3
		.amdhsa_dx10_clamp 1
		.amdhsa_ieee_mode 1
		.amdhsa_fp16_overflow 0
		.amdhsa_workgroup_processor_mode 1
		.amdhsa_memory_ordered 1
		.amdhsa_forward_progress 0
		.amdhsa_shared_vgpr_count 0
		.amdhsa_exception_fp_ieee_invalid_op 0
		.amdhsa_exception_fp_denorm_src 0
		.amdhsa_exception_fp_ieee_div_zero 0
		.amdhsa_exception_fp_ieee_overflow 0
		.amdhsa_exception_fp_ieee_underflow 0
		.amdhsa_exception_fp_ieee_inexact 0
		.amdhsa_exception_int_div_zero 0
	.end_amdhsa_kernel
	.text
.Lfunc_end0:
	.size	fft_rtc_back_len100_factors_10_5_2_wgs_250_tpt_10_dim3_sp_ip_CI_sbcc_twdbase8_2step_dirReg, .Lfunc_end0-fft_rtc_back_len100_factors_10_5_2_wgs_250_tpt_10_dim3_sp_ip_CI_sbcc_twdbase8_2step_dirReg
                                        ; -- End function
	.section	.AMDGPU.csdata,"",@progbits
; Kernel info:
; codeLenInByte = 6740
; NumSgprs: 28
; NumVgprs: 84
; ScratchSize: 0
; MemoryBound: 0
; FloatMode: 240
; IeeeMode: 1
; LDSByteSize: 0 bytes/workgroup (compile time only)
; SGPRBlocks: 3
; VGPRBlocks: 10
; NumSGPRsForWavesPerEU: 28
; NumVGPRsForWavesPerEU: 84
; Occupancy: 10
; WaveLimiterHint : 1
; COMPUTE_PGM_RSRC2:SCRATCH_EN: 0
; COMPUTE_PGM_RSRC2:USER_SGPR: 6
; COMPUTE_PGM_RSRC2:TRAP_HANDLER: 0
; COMPUTE_PGM_RSRC2:TGID_X_EN: 1
; COMPUTE_PGM_RSRC2:TGID_Y_EN: 0
; COMPUTE_PGM_RSRC2:TGID_Z_EN: 0
; COMPUTE_PGM_RSRC2:TIDIG_COMP_CNT: 0
	.text
	.p2alignl 6, 3214868480
	.fill 48, 4, 3214868480
	.type	__hip_cuid_bdac55fcca1eaa2b,@object ; @__hip_cuid_bdac55fcca1eaa2b
	.section	.bss,"aw",@nobits
	.globl	__hip_cuid_bdac55fcca1eaa2b
__hip_cuid_bdac55fcca1eaa2b:
	.byte	0                               ; 0x0
	.size	__hip_cuid_bdac55fcca1eaa2b, 1

	.ident	"AMD clang version 19.0.0git (https://github.com/RadeonOpenCompute/llvm-project roc-6.4.0 25133 c7fe45cf4b819c5991fe208aaa96edf142730f1d)"
	.section	".note.GNU-stack","",@progbits
	.addrsig
	.addrsig_sym __hip_cuid_bdac55fcca1eaa2b
	.amdgpu_metadata
---
amdhsa.kernels:
  - .args:
      - .actual_access:  read_only
        .address_space:  global
        .offset:         0
        .size:           8
        .value_kind:     global_buffer
      - .address_space:  global
        .offset:         8
        .size:           8
        .value_kind:     global_buffer
      - .actual_access:  read_only
        .address_space:  global
        .offset:         16
        .size:           8
        .value_kind:     global_buffer
      - .actual_access:  read_only
        .address_space:  global
        .offset:         24
        .size:           8
        .value_kind:     global_buffer
      - .offset:         32
        .size:           8
        .value_kind:     by_value
      - .actual_access:  read_only
        .address_space:  global
        .offset:         40
        .size:           8
        .value_kind:     global_buffer
      - .actual_access:  read_only
        .address_space:  global
        .offset:         48
        .size:           8
        .value_kind:     global_buffer
      - .offset:         56
        .size:           4
        .value_kind:     by_value
      - .actual_access:  read_only
        .address_space:  global
        .offset:         64
        .size:           8
        .value_kind:     global_buffer
      - .actual_access:  read_only
        .address_space:  global
        .offset:         72
        .size:           8
        .value_kind:     global_buffer
      - .address_space:  global
        .offset:         80
        .size:           8
        .value_kind:     global_buffer
    .group_segment_fixed_size: 0
    .kernarg_segment_align: 8
    .kernarg_segment_size: 88
    .language:       OpenCL C
    .language_version:
      - 2
      - 0
    .max_flat_workgroup_size: 250
    .name:           fft_rtc_back_len100_factors_10_5_2_wgs_250_tpt_10_dim3_sp_ip_CI_sbcc_twdbase8_2step_dirReg
    .private_segment_fixed_size: 0
    .sgpr_count:     28
    .sgpr_spill_count: 0
    .symbol:         fft_rtc_back_len100_factors_10_5_2_wgs_250_tpt_10_dim3_sp_ip_CI_sbcc_twdbase8_2step_dirReg.kd
    .uniform_work_group_size: 1
    .uses_dynamic_stack: false
    .vgpr_count:     84
    .vgpr_spill_count: 0
    .wavefront_size: 32
    .workgroup_processor_mode: 1
amdhsa.target:   amdgcn-amd-amdhsa--gfx1030
amdhsa.version:
  - 1
  - 2
...

	.end_amdgpu_metadata
